;; amdgpu-corpus repo=ROCm/rocThrust kind=compiled arch=gfx1250 opt=O3
	.amdgcn_target "amdgcn-amd-amdhsa--gfx1250"
	.amdhsa_code_object_version 6
	.section	.text._ZN6thrust23THRUST_200600_302600_NS11hip_rocprim14__parallel_for6kernelILj256ENS1_20__uninitialized_fill7functorINS0_10device_ptrIiEEiEEmLj1EEEvT0_T1_SA_,"axG",@progbits,_ZN6thrust23THRUST_200600_302600_NS11hip_rocprim14__parallel_for6kernelILj256ENS1_20__uninitialized_fill7functorINS0_10device_ptrIiEEiEEmLj1EEEvT0_T1_SA_,comdat
	.protected	_ZN6thrust23THRUST_200600_302600_NS11hip_rocprim14__parallel_for6kernelILj256ENS1_20__uninitialized_fill7functorINS0_10device_ptrIiEEiEEmLj1EEEvT0_T1_SA_ ; -- Begin function _ZN6thrust23THRUST_200600_302600_NS11hip_rocprim14__parallel_for6kernelILj256ENS1_20__uninitialized_fill7functorINS0_10device_ptrIiEEiEEmLj1EEEvT0_T1_SA_
	.globl	_ZN6thrust23THRUST_200600_302600_NS11hip_rocprim14__parallel_for6kernelILj256ENS1_20__uninitialized_fill7functorINS0_10device_ptrIiEEiEEmLj1EEEvT0_T1_SA_
	.p2align	8
	.type	_ZN6thrust23THRUST_200600_302600_NS11hip_rocprim14__parallel_for6kernelILj256ENS1_20__uninitialized_fill7functorINS0_10device_ptrIiEEiEEmLj1EEEvT0_T1_SA_,@function
_ZN6thrust23THRUST_200600_302600_NS11hip_rocprim14__parallel_for6kernelILj256ENS1_20__uninitialized_fill7functorINS0_10device_ptrIiEEiEEmLj1EEEvT0_T1_SA_: ; @_ZN6thrust23THRUST_200600_302600_NS11hip_rocprim14__parallel_for6kernelILj256ENS1_20__uninitialized_fill7functorINS0_10device_ptrIiEEiEEmLj1EEEvT0_T1_SA_
; %bb.0:
	s_load_b128 s[8:11], s[0:1], 0x10
	s_bfe_u32 s2, ttmp6, 0x4000c
	s_and_b32 s3, ttmp6, 15
	s_add_co_i32 s2, s2, 1
	s_getreg_b32 s4, hwreg(HW_REG_IB_STS2, 6, 4)
	s_mul_i32 s2, ttmp9, s2
	s_delay_alu instid0(SALU_CYCLE_1)
	s_add_co_i32 s3, s3, s2
	s_cmp_eq_u32 s4, 0
	s_load_b96 s[4:6], s[0:1], 0x0
	s_wait_xcnt 0x0
	s_cselect_b32 s0, ttmp9, s3
	s_mov_b32 s1, 0
	s_lshl_b32 s0, s0, 8
	s_wait_kmcnt 0x0
	s_add_nc_u64 s[0:1], s[10:11], s[0:1]
	s_delay_alu instid0(SALU_CYCLE_1) | instskip(NEXT) | instid1(SALU_CYCLE_1)
	s_sub_nc_u64 s[2:3], s[8:9], s[0:1]
	v_cmp_lt_u64_e64 s3, 0xff, s[2:3]
	s_and_b32 vcc_lo, exec_lo, s3
	s_mov_b32 s3, -1
	s_cbranch_vccz .LBB0_3
; %bb.1:
	s_and_not1_b32 vcc_lo, exec_lo, s3
	s_cbranch_vccz .LBB0_6
.LBB0_2:
	s_endpgm
.LBB0_3:
	v_cmp_gt_u32_e32 vcc_lo, s2, v0
	s_and_saveexec_b32 s2, vcc_lo
	s_cbranch_execz .LBB0_5
; %bb.4:
	v_mov_b32_e32 v1, s6
	s_lshl_b64 s[8:9], s[0:1], 2
	s_delay_alu instid0(SALU_CYCLE_1)
	s_add_nc_u64 s[8:9], s[4:5], s[8:9]
	flat_store_b32 v0, v1, s[8:9] scale_offset
.LBB0_5:
	s_wait_xcnt 0x0
	s_or_b32 exec_lo, exec_lo, s2
	s_cbranch_execnz .LBB0_2
.LBB0_6:
	v_mov_b32_e32 v1, s6
	s_lshl_b64 s[0:1], s[0:1], 2
	s_delay_alu instid0(SALU_CYCLE_1)
	s_add_nc_u64 s[0:1], s[4:5], s[0:1]
	flat_store_b32 v0, v1, s[0:1] scale_offset
	s_endpgm
	.section	.rodata,"a",@progbits
	.p2align	6, 0x0
	.amdhsa_kernel _ZN6thrust23THRUST_200600_302600_NS11hip_rocprim14__parallel_for6kernelILj256ENS1_20__uninitialized_fill7functorINS0_10device_ptrIiEEiEEmLj1EEEvT0_T1_SA_
		.amdhsa_group_segment_fixed_size 0
		.amdhsa_private_segment_fixed_size 0
		.amdhsa_kernarg_size 32
		.amdhsa_user_sgpr_count 2
		.amdhsa_user_sgpr_dispatch_ptr 0
		.amdhsa_user_sgpr_queue_ptr 0
		.amdhsa_user_sgpr_kernarg_segment_ptr 1
		.amdhsa_user_sgpr_dispatch_id 0
		.amdhsa_user_sgpr_kernarg_preload_length 0
		.amdhsa_user_sgpr_kernarg_preload_offset 0
		.amdhsa_user_sgpr_private_segment_size 0
		.amdhsa_wavefront_size32 1
		.amdhsa_uses_dynamic_stack 0
		.amdhsa_enable_private_segment 0
		.amdhsa_system_sgpr_workgroup_id_x 1
		.amdhsa_system_sgpr_workgroup_id_y 0
		.amdhsa_system_sgpr_workgroup_id_z 0
		.amdhsa_system_sgpr_workgroup_info 0
		.amdhsa_system_vgpr_workitem_id 0
		.amdhsa_next_free_vgpr 2
		.amdhsa_next_free_sgpr 12
		.amdhsa_named_barrier_count 0
		.amdhsa_reserve_vcc 1
		.amdhsa_float_round_mode_32 0
		.amdhsa_float_round_mode_16_64 0
		.amdhsa_float_denorm_mode_32 3
		.amdhsa_float_denorm_mode_16_64 3
		.amdhsa_fp16_overflow 0
		.amdhsa_memory_ordered 1
		.amdhsa_forward_progress 1
		.amdhsa_inst_pref_size 2
		.amdhsa_round_robin_scheduling 0
		.amdhsa_exception_fp_ieee_invalid_op 0
		.amdhsa_exception_fp_denorm_src 0
		.amdhsa_exception_fp_ieee_div_zero 0
		.amdhsa_exception_fp_ieee_overflow 0
		.amdhsa_exception_fp_ieee_underflow 0
		.amdhsa_exception_fp_ieee_inexact 0
		.amdhsa_exception_int_div_zero 0
	.end_amdhsa_kernel
	.section	.text._ZN6thrust23THRUST_200600_302600_NS11hip_rocprim14__parallel_for6kernelILj256ENS1_20__uninitialized_fill7functorINS0_10device_ptrIiEEiEEmLj1EEEvT0_T1_SA_,"axG",@progbits,_ZN6thrust23THRUST_200600_302600_NS11hip_rocprim14__parallel_for6kernelILj256ENS1_20__uninitialized_fill7functorINS0_10device_ptrIiEEiEEmLj1EEEvT0_T1_SA_,comdat
.Lfunc_end0:
	.size	_ZN6thrust23THRUST_200600_302600_NS11hip_rocprim14__parallel_for6kernelILj256ENS1_20__uninitialized_fill7functorINS0_10device_ptrIiEEiEEmLj1EEEvT0_T1_SA_, .Lfunc_end0-_ZN6thrust23THRUST_200600_302600_NS11hip_rocprim14__parallel_for6kernelILj256ENS1_20__uninitialized_fill7functorINS0_10device_ptrIiEEiEEmLj1EEEvT0_T1_SA_
                                        ; -- End function
	.set _ZN6thrust23THRUST_200600_302600_NS11hip_rocprim14__parallel_for6kernelILj256ENS1_20__uninitialized_fill7functorINS0_10device_ptrIiEEiEEmLj1EEEvT0_T1_SA_.num_vgpr, 2
	.set _ZN6thrust23THRUST_200600_302600_NS11hip_rocprim14__parallel_for6kernelILj256ENS1_20__uninitialized_fill7functorINS0_10device_ptrIiEEiEEmLj1EEEvT0_T1_SA_.num_agpr, 0
	.set _ZN6thrust23THRUST_200600_302600_NS11hip_rocprim14__parallel_for6kernelILj256ENS1_20__uninitialized_fill7functorINS0_10device_ptrIiEEiEEmLj1EEEvT0_T1_SA_.numbered_sgpr, 12
	.set _ZN6thrust23THRUST_200600_302600_NS11hip_rocprim14__parallel_for6kernelILj256ENS1_20__uninitialized_fill7functorINS0_10device_ptrIiEEiEEmLj1EEEvT0_T1_SA_.num_named_barrier, 0
	.set _ZN6thrust23THRUST_200600_302600_NS11hip_rocprim14__parallel_for6kernelILj256ENS1_20__uninitialized_fill7functorINS0_10device_ptrIiEEiEEmLj1EEEvT0_T1_SA_.private_seg_size, 0
	.set _ZN6thrust23THRUST_200600_302600_NS11hip_rocprim14__parallel_for6kernelILj256ENS1_20__uninitialized_fill7functorINS0_10device_ptrIiEEiEEmLj1EEEvT0_T1_SA_.uses_vcc, 1
	.set _ZN6thrust23THRUST_200600_302600_NS11hip_rocprim14__parallel_for6kernelILj256ENS1_20__uninitialized_fill7functorINS0_10device_ptrIiEEiEEmLj1EEEvT0_T1_SA_.uses_flat_scratch, 0
	.set _ZN6thrust23THRUST_200600_302600_NS11hip_rocprim14__parallel_for6kernelILj256ENS1_20__uninitialized_fill7functorINS0_10device_ptrIiEEiEEmLj1EEEvT0_T1_SA_.has_dyn_sized_stack, 0
	.set _ZN6thrust23THRUST_200600_302600_NS11hip_rocprim14__parallel_for6kernelILj256ENS1_20__uninitialized_fill7functorINS0_10device_ptrIiEEiEEmLj1EEEvT0_T1_SA_.has_recursion, 0
	.set _ZN6thrust23THRUST_200600_302600_NS11hip_rocprim14__parallel_for6kernelILj256ENS1_20__uninitialized_fill7functorINS0_10device_ptrIiEEiEEmLj1EEEvT0_T1_SA_.has_indirect_call, 0
	.section	.AMDGPU.csdata,"",@progbits
; Kernel info:
; codeLenInByte = 204
; TotalNumSgprs: 14
; NumVgprs: 2
; ScratchSize: 0
; MemoryBound: 0
; FloatMode: 240
; IeeeMode: 1
; LDSByteSize: 0 bytes/workgroup (compile time only)
; SGPRBlocks: 0
; VGPRBlocks: 0
; NumSGPRsForWavesPerEU: 14
; NumVGPRsForWavesPerEU: 2
; NamedBarCnt: 0
; Occupancy: 16
; WaveLimiterHint : 0
; COMPUTE_PGM_RSRC2:SCRATCH_EN: 0
; COMPUTE_PGM_RSRC2:USER_SGPR: 2
; COMPUTE_PGM_RSRC2:TRAP_HANDLER: 0
; COMPUTE_PGM_RSRC2:TGID_X_EN: 1
; COMPUTE_PGM_RSRC2:TGID_Y_EN: 0
; COMPUTE_PGM_RSRC2:TGID_Z_EN: 0
; COMPUTE_PGM_RSRC2:TIDIG_COMP_CNT: 0
	.section	.text._Z21simple_copy_on_deviceIN6thrust23THRUST_200600_302600_NS6detail15normal_iteratorINS1_10device_ptrIiEEEES6_EvT_S7_T0_,"axG",@progbits,_Z21simple_copy_on_deviceIN6thrust23THRUST_200600_302600_NS6detail15normal_iteratorINS1_10device_ptrIiEEEES6_EvT_S7_T0_,comdat
	.protected	_Z21simple_copy_on_deviceIN6thrust23THRUST_200600_302600_NS6detail15normal_iteratorINS1_10device_ptrIiEEEES6_EvT_S7_T0_ ; -- Begin function _Z21simple_copy_on_deviceIN6thrust23THRUST_200600_302600_NS6detail15normal_iteratorINS1_10device_ptrIiEEEES6_EvT_S7_T0_
	.globl	_Z21simple_copy_on_deviceIN6thrust23THRUST_200600_302600_NS6detail15normal_iteratorINS1_10device_ptrIiEEEES6_EvT_S7_T0_
	.p2align	8
	.type	_Z21simple_copy_on_deviceIN6thrust23THRUST_200600_302600_NS6detail15normal_iteratorINS1_10device_ptrIiEEEES6_EvT_S7_T0_,@function
_Z21simple_copy_on_deviceIN6thrust23THRUST_200600_302600_NS6detail15normal_iteratorINS1_10device_ptrIiEEEES6_EvT_S7_T0_: ; @_Z21simple_copy_on_deviceIN6thrust23THRUST_200600_302600_NS6detail15normal_iteratorINS1_10device_ptrIiEEEES6_EvT_S7_T0_
; %bb.0:
	s_load_b128 s[4:7], s[0:1], 0x0
	s_wait_kmcnt 0x0
	s_cmp_eq_u64 s[4:5], s[6:7]
	s_cbranch_scc1 .LBB1_3
; %bb.1:
	s_load_b64 s[0:1], s[0:1], 0x10
	v_mov_b32_e32 v0, 0
.LBB1_2:                                ; =>This Inner Loop Header: Depth=1
	global_load_b32 v1, v0, s[4:5]
	s_wait_xcnt 0x0
	s_add_nc_u64 s[4:5], s[4:5], 4
	s_wait_kmcnt 0x0
	s_add_nc_u64 s[8:9], s[0:1], 4
	s_cmp_lg_u64 s[4:5], s[6:7]
	s_wait_loadcnt 0x0
	global_store_b32 v0, v1, s[0:1]
	s_wait_xcnt 0x0
	s_mov_b64 s[0:1], s[8:9]
	s_cbranch_scc1 .LBB1_2
.LBB1_3:
	s_endpgm
	.section	.rodata,"a",@progbits
	.p2align	6, 0x0
	.amdhsa_kernel _Z21simple_copy_on_deviceIN6thrust23THRUST_200600_302600_NS6detail15normal_iteratorINS1_10device_ptrIiEEEES6_EvT_S7_T0_
		.amdhsa_group_segment_fixed_size 0
		.amdhsa_private_segment_fixed_size 0
		.amdhsa_kernarg_size 24
		.amdhsa_user_sgpr_count 2
		.amdhsa_user_sgpr_dispatch_ptr 0
		.amdhsa_user_sgpr_queue_ptr 0
		.amdhsa_user_sgpr_kernarg_segment_ptr 1
		.amdhsa_user_sgpr_dispatch_id 0
		.amdhsa_user_sgpr_kernarg_preload_length 0
		.amdhsa_user_sgpr_kernarg_preload_offset 0
		.amdhsa_user_sgpr_private_segment_size 0
		.amdhsa_wavefront_size32 1
		.amdhsa_uses_dynamic_stack 0
		.amdhsa_enable_private_segment 0
		.amdhsa_system_sgpr_workgroup_id_x 1
		.amdhsa_system_sgpr_workgroup_id_y 0
		.amdhsa_system_sgpr_workgroup_id_z 0
		.amdhsa_system_sgpr_workgroup_info 0
		.amdhsa_system_vgpr_workitem_id 0
		.amdhsa_next_free_vgpr 2
		.amdhsa_next_free_sgpr 10
		.amdhsa_named_barrier_count 0
		.amdhsa_reserve_vcc 0
		.amdhsa_float_round_mode_32 0
		.amdhsa_float_round_mode_16_64 0
		.amdhsa_float_denorm_mode_32 3
		.amdhsa_float_denorm_mode_16_64 3
		.amdhsa_fp16_overflow 0
		.amdhsa_memory_ordered 1
		.amdhsa_forward_progress 1
		.amdhsa_inst_pref_size 1
		.amdhsa_round_robin_scheduling 0
		.amdhsa_exception_fp_ieee_invalid_op 0
		.amdhsa_exception_fp_denorm_src 0
		.amdhsa_exception_fp_ieee_div_zero 0
		.amdhsa_exception_fp_ieee_overflow 0
		.amdhsa_exception_fp_ieee_underflow 0
		.amdhsa_exception_fp_ieee_inexact 0
		.amdhsa_exception_int_div_zero 0
	.end_amdhsa_kernel
	.section	.text._Z21simple_copy_on_deviceIN6thrust23THRUST_200600_302600_NS6detail15normal_iteratorINS1_10device_ptrIiEEEES6_EvT_S7_T0_,"axG",@progbits,_Z21simple_copy_on_deviceIN6thrust23THRUST_200600_302600_NS6detail15normal_iteratorINS1_10device_ptrIiEEEES6_EvT_S7_T0_,comdat
.Lfunc_end1:
	.size	_Z21simple_copy_on_deviceIN6thrust23THRUST_200600_302600_NS6detail15normal_iteratorINS1_10device_ptrIiEEEES6_EvT_S7_T0_, .Lfunc_end1-_Z21simple_copy_on_deviceIN6thrust23THRUST_200600_302600_NS6detail15normal_iteratorINS1_10device_ptrIiEEEES6_EvT_S7_T0_
                                        ; -- End function
	.set _Z21simple_copy_on_deviceIN6thrust23THRUST_200600_302600_NS6detail15normal_iteratorINS1_10device_ptrIiEEEES6_EvT_S7_T0_.num_vgpr, 2
	.set _Z21simple_copy_on_deviceIN6thrust23THRUST_200600_302600_NS6detail15normal_iteratorINS1_10device_ptrIiEEEES6_EvT_S7_T0_.num_agpr, 0
	.set _Z21simple_copy_on_deviceIN6thrust23THRUST_200600_302600_NS6detail15normal_iteratorINS1_10device_ptrIiEEEES6_EvT_S7_T0_.numbered_sgpr, 10
	.set _Z21simple_copy_on_deviceIN6thrust23THRUST_200600_302600_NS6detail15normal_iteratorINS1_10device_ptrIiEEEES6_EvT_S7_T0_.num_named_barrier, 0
	.set _Z21simple_copy_on_deviceIN6thrust23THRUST_200600_302600_NS6detail15normal_iteratorINS1_10device_ptrIiEEEES6_EvT_S7_T0_.private_seg_size, 0
	.set _Z21simple_copy_on_deviceIN6thrust23THRUST_200600_302600_NS6detail15normal_iteratorINS1_10device_ptrIiEEEES6_EvT_S7_T0_.uses_vcc, 0
	.set _Z21simple_copy_on_deviceIN6thrust23THRUST_200600_302600_NS6detail15normal_iteratorINS1_10device_ptrIiEEEES6_EvT_S7_T0_.uses_flat_scratch, 0
	.set _Z21simple_copy_on_deviceIN6thrust23THRUST_200600_302600_NS6detail15normal_iteratorINS1_10device_ptrIiEEEES6_EvT_S7_T0_.has_dyn_sized_stack, 0
	.set _Z21simple_copy_on_deviceIN6thrust23THRUST_200600_302600_NS6detail15normal_iteratorINS1_10device_ptrIiEEEES6_EvT_S7_T0_.has_recursion, 0
	.set _Z21simple_copy_on_deviceIN6thrust23THRUST_200600_302600_NS6detail15normal_iteratorINS1_10device_ptrIiEEEES6_EvT_S7_T0_.has_indirect_call, 0
	.section	.AMDGPU.csdata,"",@progbits
; Kernel info:
; codeLenInByte = 96
; TotalNumSgprs: 10
; NumVgprs: 2
; ScratchSize: 0
; MemoryBound: 0
; FloatMode: 240
; IeeeMode: 1
; LDSByteSize: 0 bytes/workgroup (compile time only)
; SGPRBlocks: 0
; VGPRBlocks: 0
; NumSGPRsForWavesPerEU: 10
; NumVGPRsForWavesPerEU: 2
; NamedBarCnt: 0
; Occupancy: 16
; WaveLimiterHint : 0
; COMPUTE_PGM_RSRC2:SCRATCH_EN: 0
; COMPUTE_PGM_RSRC2:USER_SGPR: 2
; COMPUTE_PGM_RSRC2:TRAP_HANDLER: 0
; COMPUTE_PGM_RSRC2:TGID_X_EN: 1
; COMPUTE_PGM_RSRC2:TGID_Y_EN: 0
; COMPUTE_PGM_RSRC2:TGID_Z_EN: 0
; COMPUTE_PGM_RSRC2:TIDIG_COMP_CNT: 0
	.section	.text._Z21simple_copy_on_deviceIN6thrust23THRUST_200600_302600_NS10device_ptrIiEES3_EvT_S4_T0_,"axG",@progbits,_Z21simple_copy_on_deviceIN6thrust23THRUST_200600_302600_NS10device_ptrIiEES3_EvT_S4_T0_,comdat
	.protected	_Z21simple_copy_on_deviceIN6thrust23THRUST_200600_302600_NS10device_ptrIiEES3_EvT_S4_T0_ ; -- Begin function _Z21simple_copy_on_deviceIN6thrust23THRUST_200600_302600_NS10device_ptrIiEES3_EvT_S4_T0_
	.globl	_Z21simple_copy_on_deviceIN6thrust23THRUST_200600_302600_NS10device_ptrIiEES3_EvT_S4_T0_
	.p2align	8
	.type	_Z21simple_copy_on_deviceIN6thrust23THRUST_200600_302600_NS10device_ptrIiEES3_EvT_S4_T0_,@function
_Z21simple_copy_on_deviceIN6thrust23THRUST_200600_302600_NS10device_ptrIiEES3_EvT_S4_T0_: ; @_Z21simple_copy_on_deviceIN6thrust23THRUST_200600_302600_NS10device_ptrIiEES3_EvT_S4_T0_
; %bb.0:
	s_load_b128 s[4:7], s[0:1], 0x0
	s_wait_kmcnt 0x0
	s_cmp_eq_u64 s[4:5], s[6:7]
	s_cbranch_scc1 .LBB2_3
; %bb.1:
	s_load_b64 s[0:1], s[0:1], 0x10
	v_mov_b32_e32 v0, 0
.LBB2_2:                                ; =>This Inner Loop Header: Depth=1
	global_load_b32 v1, v0, s[4:5]
	s_wait_xcnt 0x0
	s_add_nc_u64 s[4:5], s[4:5], 4
	s_wait_kmcnt 0x0
	s_add_nc_u64 s[8:9], s[0:1], 4
	s_cmp_lg_u64 s[4:5], s[6:7]
	s_wait_loadcnt 0x0
	global_store_b32 v0, v1, s[0:1]
	s_wait_xcnt 0x0
	s_mov_b64 s[0:1], s[8:9]
	s_cbranch_scc1 .LBB2_2
.LBB2_3:
	s_endpgm
	.section	.rodata,"a",@progbits
	.p2align	6, 0x0
	.amdhsa_kernel _Z21simple_copy_on_deviceIN6thrust23THRUST_200600_302600_NS10device_ptrIiEES3_EvT_S4_T0_
		.amdhsa_group_segment_fixed_size 0
		.amdhsa_private_segment_fixed_size 0
		.amdhsa_kernarg_size 24
		.amdhsa_user_sgpr_count 2
		.amdhsa_user_sgpr_dispatch_ptr 0
		.amdhsa_user_sgpr_queue_ptr 0
		.amdhsa_user_sgpr_kernarg_segment_ptr 1
		.amdhsa_user_sgpr_dispatch_id 0
		.amdhsa_user_sgpr_kernarg_preload_length 0
		.amdhsa_user_sgpr_kernarg_preload_offset 0
		.amdhsa_user_sgpr_private_segment_size 0
		.amdhsa_wavefront_size32 1
		.amdhsa_uses_dynamic_stack 0
		.amdhsa_enable_private_segment 0
		.amdhsa_system_sgpr_workgroup_id_x 1
		.amdhsa_system_sgpr_workgroup_id_y 0
		.amdhsa_system_sgpr_workgroup_id_z 0
		.amdhsa_system_sgpr_workgroup_info 0
		.amdhsa_system_vgpr_workitem_id 0
		.amdhsa_next_free_vgpr 2
		.amdhsa_next_free_sgpr 10
		.amdhsa_named_barrier_count 0
		.amdhsa_reserve_vcc 0
		.amdhsa_float_round_mode_32 0
		.amdhsa_float_round_mode_16_64 0
		.amdhsa_float_denorm_mode_32 3
		.amdhsa_float_denorm_mode_16_64 3
		.amdhsa_fp16_overflow 0
		.amdhsa_memory_ordered 1
		.amdhsa_forward_progress 1
		.amdhsa_inst_pref_size 1
		.amdhsa_round_robin_scheduling 0
		.amdhsa_exception_fp_ieee_invalid_op 0
		.amdhsa_exception_fp_denorm_src 0
		.amdhsa_exception_fp_ieee_div_zero 0
		.amdhsa_exception_fp_ieee_overflow 0
		.amdhsa_exception_fp_ieee_underflow 0
		.amdhsa_exception_fp_ieee_inexact 0
		.amdhsa_exception_int_div_zero 0
	.end_amdhsa_kernel
	.section	.text._Z21simple_copy_on_deviceIN6thrust23THRUST_200600_302600_NS10device_ptrIiEES3_EvT_S4_T0_,"axG",@progbits,_Z21simple_copy_on_deviceIN6thrust23THRUST_200600_302600_NS10device_ptrIiEES3_EvT_S4_T0_,comdat
.Lfunc_end2:
	.size	_Z21simple_copy_on_deviceIN6thrust23THRUST_200600_302600_NS10device_ptrIiEES3_EvT_S4_T0_, .Lfunc_end2-_Z21simple_copy_on_deviceIN6thrust23THRUST_200600_302600_NS10device_ptrIiEES3_EvT_S4_T0_
                                        ; -- End function
	.set _Z21simple_copy_on_deviceIN6thrust23THRUST_200600_302600_NS10device_ptrIiEES3_EvT_S4_T0_.num_vgpr, 2
	.set _Z21simple_copy_on_deviceIN6thrust23THRUST_200600_302600_NS10device_ptrIiEES3_EvT_S4_T0_.num_agpr, 0
	.set _Z21simple_copy_on_deviceIN6thrust23THRUST_200600_302600_NS10device_ptrIiEES3_EvT_S4_T0_.numbered_sgpr, 10
	.set _Z21simple_copy_on_deviceIN6thrust23THRUST_200600_302600_NS10device_ptrIiEES3_EvT_S4_T0_.num_named_barrier, 0
	.set _Z21simple_copy_on_deviceIN6thrust23THRUST_200600_302600_NS10device_ptrIiEES3_EvT_S4_T0_.private_seg_size, 0
	.set _Z21simple_copy_on_deviceIN6thrust23THRUST_200600_302600_NS10device_ptrIiEES3_EvT_S4_T0_.uses_vcc, 0
	.set _Z21simple_copy_on_deviceIN6thrust23THRUST_200600_302600_NS10device_ptrIiEES3_EvT_S4_T0_.uses_flat_scratch, 0
	.set _Z21simple_copy_on_deviceIN6thrust23THRUST_200600_302600_NS10device_ptrIiEES3_EvT_S4_T0_.has_dyn_sized_stack, 0
	.set _Z21simple_copy_on_deviceIN6thrust23THRUST_200600_302600_NS10device_ptrIiEES3_EvT_S4_T0_.has_recursion, 0
	.set _Z21simple_copy_on_deviceIN6thrust23THRUST_200600_302600_NS10device_ptrIiEES3_EvT_S4_T0_.has_indirect_call, 0
	.section	.AMDGPU.csdata,"",@progbits
; Kernel info:
; codeLenInByte = 96
; TotalNumSgprs: 10
; NumVgprs: 2
; ScratchSize: 0
; MemoryBound: 0
; FloatMode: 240
; IeeeMode: 1
; LDSByteSize: 0 bytes/workgroup (compile time only)
; SGPRBlocks: 0
; VGPRBlocks: 0
; NumSGPRsForWavesPerEU: 10
; NumVGPRsForWavesPerEU: 2
; NamedBarCnt: 0
; Occupancy: 16
; WaveLimiterHint : 0
; COMPUTE_PGM_RSRC2:SCRATCH_EN: 0
; COMPUTE_PGM_RSRC2:USER_SGPR: 2
; COMPUTE_PGM_RSRC2:TRAP_HANDLER: 0
; COMPUTE_PGM_RSRC2:TGID_X_EN: 1
; COMPUTE_PGM_RSRC2:TGID_Y_EN: 0
; COMPUTE_PGM_RSRC2:TGID_Z_EN: 0
; COMPUTE_PGM_RSRC2:TIDIG_COMP_CNT: 0
	.section	.text._Z21simple_copy_on_deviceIN6thrust23THRUST_200600_302600_NS18transform_iteratorINS1_8identityIiEENS1_6detail15normal_iteratorINS1_10device_ptrIiEEEENS1_11use_defaultESA_EES9_EvT_SC_T0_,"axG",@progbits,_Z21simple_copy_on_deviceIN6thrust23THRUST_200600_302600_NS18transform_iteratorINS1_8identityIiEENS1_6detail15normal_iteratorINS1_10device_ptrIiEEEENS1_11use_defaultESA_EES9_EvT_SC_T0_,comdat
	.protected	_Z21simple_copy_on_deviceIN6thrust23THRUST_200600_302600_NS18transform_iteratorINS1_8identityIiEENS1_6detail15normal_iteratorINS1_10device_ptrIiEEEENS1_11use_defaultESA_EES9_EvT_SC_T0_ ; -- Begin function _Z21simple_copy_on_deviceIN6thrust23THRUST_200600_302600_NS18transform_iteratorINS1_8identityIiEENS1_6detail15normal_iteratorINS1_10device_ptrIiEEEENS1_11use_defaultESA_EES9_EvT_SC_T0_
	.globl	_Z21simple_copy_on_deviceIN6thrust23THRUST_200600_302600_NS18transform_iteratorINS1_8identityIiEENS1_6detail15normal_iteratorINS1_10device_ptrIiEEEENS1_11use_defaultESA_EES9_EvT_SC_T0_
	.p2align	8
	.type	_Z21simple_copy_on_deviceIN6thrust23THRUST_200600_302600_NS18transform_iteratorINS1_8identityIiEENS1_6detail15normal_iteratorINS1_10device_ptrIiEEEENS1_11use_defaultESA_EES9_EvT_SC_T0_,@function
_Z21simple_copy_on_deviceIN6thrust23THRUST_200600_302600_NS18transform_iteratorINS1_8identityIiEENS1_6detail15normal_iteratorINS1_10device_ptrIiEEEENS1_11use_defaultESA_EES9_EvT_SC_T0_: ; @_Z21simple_copy_on_deviceIN6thrust23THRUST_200600_302600_NS18transform_iteratorINS1_8identityIiEENS1_6detail15normal_iteratorINS1_10device_ptrIiEEEENS1_11use_defaultESA_EES9_EvT_SC_T0_
; %bb.0:
	s_clause 0x1
	s_load_b64 s[4:5], s[0:1], 0x0
	s_load_b64 s[2:3], s[0:1], 0x10
	s_wait_kmcnt 0x0
	s_cmp_eq_u64 s[4:5], s[2:3]
	s_cbranch_scc1 .LBB3_3
; %bb.1:
	s_load_b64 s[0:1], s[0:1], 0x20
	v_mov_b32_e32 v0, 0
.LBB3_2:                                ; =>This Inner Loop Header: Depth=1
	global_load_b32 v1, v0, s[4:5]
	s_wait_xcnt 0x0
	s_add_nc_u64 s[4:5], s[4:5], 4
	s_wait_kmcnt 0x0
	s_add_nc_u64 s[6:7], s[0:1], 4
	s_cmp_lg_u64 s[4:5], s[2:3]
	s_wait_loadcnt 0x0
	global_store_b32 v0, v1, s[0:1]
	s_wait_xcnt 0x0
	s_mov_b64 s[0:1], s[6:7]
	s_cbranch_scc1 .LBB3_2
.LBB3_3:
	s_endpgm
	.section	.rodata,"a",@progbits
	.p2align	6, 0x0
	.amdhsa_kernel _Z21simple_copy_on_deviceIN6thrust23THRUST_200600_302600_NS18transform_iteratorINS1_8identityIiEENS1_6detail15normal_iteratorINS1_10device_ptrIiEEEENS1_11use_defaultESA_EES9_EvT_SC_T0_
		.amdhsa_group_segment_fixed_size 0
		.amdhsa_private_segment_fixed_size 0
		.amdhsa_kernarg_size 40
		.amdhsa_user_sgpr_count 2
		.amdhsa_user_sgpr_dispatch_ptr 0
		.amdhsa_user_sgpr_queue_ptr 0
		.amdhsa_user_sgpr_kernarg_segment_ptr 1
		.amdhsa_user_sgpr_dispatch_id 0
		.amdhsa_user_sgpr_kernarg_preload_length 0
		.amdhsa_user_sgpr_kernarg_preload_offset 0
		.amdhsa_user_sgpr_private_segment_size 0
		.amdhsa_wavefront_size32 1
		.amdhsa_uses_dynamic_stack 0
		.amdhsa_enable_private_segment 0
		.amdhsa_system_sgpr_workgroup_id_x 1
		.amdhsa_system_sgpr_workgroup_id_y 0
		.amdhsa_system_sgpr_workgroup_id_z 0
		.amdhsa_system_sgpr_workgroup_info 0
		.amdhsa_system_vgpr_workitem_id 0
		.amdhsa_next_free_vgpr 2
		.amdhsa_next_free_sgpr 8
		.amdhsa_named_barrier_count 0
		.amdhsa_reserve_vcc 0
		.amdhsa_float_round_mode_32 0
		.amdhsa_float_round_mode_16_64 0
		.amdhsa_float_denorm_mode_32 3
		.amdhsa_float_denorm_mode_16_64 3
		.amdhsa_fp16_overflow 0
		.amdhsa_memory_ordered 1
		.amdhsa_forward_progress 1
		.amdhsa_inst_pref_size 1
		.amdhsa_round_robin_scheduling 0
		.amdhsa_exception_fp_ieee_invalid_op 0
		.amdhsa_exception_fp_denorm_src 0
		.amdhsa_exception_fp_ieee_div_zero 0
		.amdhsa_exception_fp_ieee_overflow 0
		.amdhsa_exception_fp_ieee_underflow 0
		.amdhsa_exception_fp_ieee_inexact 0
		.amdhsa_exception_int_div_zero 0
	.end_amdhsa_kernel
	.section	.text._Z21simple_copy_on_deviceIN6thrust23THRUST_200600_302600_NS18transform_iteratorINS1_8identityIiEENS1_6detail15normal_iteratorINS1_10device_ptrIiEEEENS1_11use_defaultESA_EES9_EvT_SC_T0_,"axG",@progbits,_Z21simple_copy_on_deviceIN6thrust23THRUST_200600_302600_NS18transform_iteratorINS1_8identityIiEENS1_6detail15normal_iteratorINS1_10device_ptrIiEEEENS1_11use_defaultESA_EES9_EvT_SC_T0_,comdat
.Lfunc_end3:
	.size	_Z21simple_copy_on_deviceIN6thrust23THRUST_200600_302600_NS18transform_iteratorINS1_8identityIiEENS1_6detail15normal_iteratorINS1_10device_ptrIiEEEENS1_11use_defaultESA_EES9_EvT_SC_T0_, .Lfunc_end3-_Z21simple_copy_on_deviceIN6thrust23THRUST_200600_302600_NS18transform_iteratorINS1_8identityIiEENS1_6detail15normal_iteratorINS1_10device_ptrIiEEEENS1_11use_defaultESA_EES9_EvT_SC_T0_
                                        ; -- End function
	.set _Z21simple_copy_on_deviceIN6thrust23THRUST_200600_302600_NS18transform_iteratorINS1_8identityIiEENS1_6detail15normal_iteratorINS1_10device_ptrIiEEEENS1_11use_defaultESA_EES9_EvT_SC_T0_.num_vgpr, 2
	.set _Z21simple_copy_on_deviceIN6thrust23THRUST_200600_302600_NS18transform_iteratorINS1_8identityIiEENS1_6detail15normal_iteratorINS1_10device_ptrIiEEEENS1_11use_defaultESA_EES9_EvT_SC_T0_.num_agpr, 0
	.set _Z21simple_copy_on_deviceIN6thrust23THRUST_200600_302600_NS18transform_iteratorINS1_8identityIiEENS1_6detail15normal_iteratorINS1_10device_ptrIiEEEENS1_11use_defaultESA_EES9_EvT_SC_T0_.numbered_sgpr, 8
	.set _Z21simple_copy_on_deviceIN6thrust23THRUST_200600_302600_NS18transform_iteratorINS1_8identityIiEENS1_6detail15normal_iteratorINS1_10device_ptrIiEEEENS1_11use_defaultESA_EES9_EvT_SC_T0_.num_named_barrier, 0
	.set _Z21simple_copy_on_deviceIN6thrust23THRUST_200600_302600_NS18transform_iteratorINS1_8identityIiEENS1_6detail15normal_iteratorINS1_10device_ptrIiEEEENS1_11use_defaultESA_EES9_EvT_SC_T0_.private_seg_size, 0
	.set _Z21simple_copy_on_deviceIN6thrust23THRUST_200600_302600_NS18transform_iteratorINS1_8identityIiEENS1_6detail15normal_iteratorINS1_10device_ptrIiEEEENS1_11use_defaultESA_EES9_EvT_SC_T0_.uses_vcc, 0
	.set _Z21simple_copy_on_deviceIN6thrust23THRUST_200600_302600_NS18transform_iteratorINS1_8identityIiEENS1_6detail15normal_iteratorINS1_10device_ptrIiEEEENS1_11use_defaultESA_EES9_EvT_SC_T0_.uses_flat_scratch, 0
	.set _Z21simple_copy_on_deviceIN6thrust23THRUST_200600_302600_NS18transform_iteratorINS1_8identityIiEENS1_6detail15normal_iteratorINS1_10device_ptrIiEEEENS1_11use_defaultESA_EES9_EvT_SC_T0_.has_dyn_sized_stack, 0
	.set _Z21simple_copy_on_deviceIN6thrust23THRUST_200600_302600_NS18transform_iteratorINS1_8identityIiEENS1_6detail15normal_iteratorINS1_10device_ptrIiEEEENS1_11use_defaultESA_EES9_EvT_SC_T0_.has_recursion, 0
	.set _Z21simple_copy_on_deviceIN6thrust23THRUST_200600_302600_NS18transform_iteratorINS1_8identityIiEENS1_6detail15normal_iteratorINS1_10device_ptrIiEEEENS1_11use_defaultESA_EES9_EvT_SC_T0_.has_indirect_call, 0
	.section	.AMDGPU.csdata,"",@progbits
; Kernel info:
; codeLenInByte = 108
; TotalNumSgprs: 8
; NumVgprs: 2
; ScratchSize: 0
; MemoryBound: 0
; FloatMode: 240
; IeeeMode: 1
; LDSByteSize: 0 bytes/workgroup (compile time only)
; SGPRBlocks: 0
; VGPRBlocks: 0
; NumSGPRsForWavesPerEU: 8
; NumVGPRsForWavesPerEU: 2
; NamedBarCnt: 0
; Occupancy: 16
; WaveLimiterHint : 0
; COMPUTE_PGM_RSRC2:SCRATCH_EN: 0
; COMPUTE_PGM_RSRC2:USER_SGPR: 2
; COMPUTE_PGM_RSRC2:TRAP_HANDLER: 0
; COMPUTE_PGM_RSRC2:TGID_X_EN: 1
; COMPUTE_PGM_RSRC2:TGID_Y_EN: 0
; COMPUTE_PGM_RSRC2:TGID_Z_EN: 0
; COMPUTE_PGM_RSRC2:TIDIG_COMP_CNT: 0
	.section	.text._Z21simple_copy_on_deviceIN6thrust23THRUST_200600_302600_NS17counting_iteratorIiNS1_11use_defaultES3_S3_EENS1_6detail15normal_iteratorINS1_10device_ptrIiEEEEEvT_SA_T0_,"axG",@progbits,_Z21simple_copy_on_deviceIN6thrust23THRUST_200600_302600_NS17counting_iteratorIiNS1_11use_defaultES3_S3_EENS1_6detail15normal_iteratorINS1_10device_ptrIiEEEEEvT_SA_T0_,comdat
	.protected	_Z21simple_copy_on_deviceIN6thrust23THRUST_200600_302600_NS17counting_iteratorIiNS1_11use_defaultES3_S3_EENS1_6detail15normal_iteratorINS1_10device_ptrIiEEEEEvT_SA_T0_ ; -- Begin function _Z21simple_copy_on_deviceIN6thrust23THRUST_200600_302600_NS17counting_iteratorIiNS1_11use_defaultES3_S3_EENS1_6detail15normal_iteratorINS1_10device_ptrIiEEEEEvT_SA_T0_
	.globl	_Z21simple_copy_on_deviceIN6thrust23THRUST_200600_302600_NS17counting_iteratorIiNS1_11use_defaultES3_S3_EENS1_6detail15normal_iteratorINS1_10device_ptrIiEEEEEvT_SA_T0_
	.p2align	8
	.type	_Z21simple_copy_on_deviceIN6thrust23THRUST_200600_302600_NS17counting_iteratorIiNS1_11use_defaultES3_S3_EENS1_6detail15normal_iteratorINS1_10device_ptrIiEEEEEvT_SA_T0_,@function
_Z21simple_copy_on_deviceIN6thrust23THRUST_200600_302600_NS17counting_iteratorIiNS1_11use_defaultES3_S3_EENS1_6detail15normal_iteratorINS1_10device_ptrIiEEEEEvT_SA_T0_: ; @_Z21simple_copy_on_deviceIN6thrust23THRUST_200600_302600_NS17counting_iteratorIiNS1_11use_defaultES3_S3_EENS1_6detail15normal_iteratorINS1_10device_ptrIiEEEEEvT_SA_T0_
; %bb.0:
	s_load_b64 s[2:3], s[0:1], 0x0
	s_wait_kmcnt 0x0
	s_cmp_eq_u32 s2, s3
	s_cbranch_scc1 .LBB4_8
; %bb.1:
	s_load_b64 s[0:1], s[0:1], 0x8
	s_not_b32 s4, s2
	s_delay_alu instid0(SALU_CYCLE_1) | instskip(NEXT) | instid1(SALU_CYCLE_1)
	s_add_co_i32 s4, s3, s4
	s_cmp_lt_u32 s4, 3
	s_cbranch_scc1 .LBB4_5
; %bb.2:
	s_mov_b32 s5, 0
	v_mov_b32_e32 v0, 0
	s_add_nc_u64 s[4:5], s[4:5], 1
	s_add_co_i32 s12, s2, 1
	s_and_b64 s[6:7], s[4:5], 0x1fffffffc
	s_mov_b32 s13, s2
	s_wait_kmcnt 0x0
	s_add_nc_u64 s[8:9], s[0:1], 8
	s_mov_b64 s[10:11], s[6:7]
.LBB4_3:                                ; =>This Inner Loop Header: Depth=1
	s_add_co_i32 s14, s12, 2
	s_add_co_i32 s15, s13, 2
	v_dual_mov_b32 v2, s13 :: v_dual_mov_b32 v3, s12
	v_dual_mov_b32 v4, s15 :: v_dual_mov_b32 v5, s14
	s_add_nc_u64 s[10:11], s[10:11], -4
	s_add_co_i32 s12, s12, 4
	s_add_co_i32 s13, s13, 4
	s_cmp_lg_u64 s[10:11], 0
	global_store_b128 v0, v[2:5], s[8:9] offset:-8
	s_wait_xcnt 0x0
	s_add_nc_u64 s[8:9], s[8:9], 16
	s_cbranch_scc1 .LBB4_3
; %bb.4:
	s_add_co_i32 s2, s2, s6
	s_lshl_b64 s[8:9], s[6:7], 2
	s_cmp_lg_u64 s[4:5], s[6:7]
	s_add_nc_u64 s[0:1], s[0:1], s[8:9]
	s_cselect_b32 s4, -1, 0
	s_delay_alu instid0(SALU_CYCLE_1)
	s_and_b32 vcc_lo, exec_lo, s4
	s_cbranch_vccnz .LBB4_6
	s_branch .LBB4_8
.LBB4_5:
	s_cbranch_execz .LBB4_8
.LBB4_6:
	v_mov_b32_e32 v0, 0
.LBB4_7:                                ; =>This Inner Loop Header: Depth=1
	v_mov_b32_e32 v1, s2
	s_add_co_i32 s2, s2, 1
	s_wait_kmcnt 0x0
	s_add_nc_u64 s[4:5], s[0:1], 4
	s_cmp_lg_u32 s3, s2
	global_store_b32 v0, v1, s[0:1]
	s_wait_xcnt 0x0
	s_mov_b64 s[0:1], s[4:5]
	s_cbranch_scc1 .LBB4_7
.LBB4_8:
	s_endpgm
	.section	.rodata,"a",@progbits
	.p2align	6, 0x0
	.amdhsa_kernel _Z21simple_copy_on_deviceIN6thrust23THRUST_200600_302600_NS17counting_iteratorIiNS1_11use_defaultES3_S3_EENS1_6detail15normal_iteratorINS1_10device_ptrIiEEEEEvT_SA_T0_
		.amdhsa_group_segment_fixed_size 0
		.amdhsa_private_segment_fixed_size 0
		.amdhsa_kernarg_size 16
		.amdhsa_user_sgpr_count 2
		.amdhsa_user_sgpr_dispatch_ptr 0
		.amdhsa_user_sgpr_queue_ptr 0
		.amdhsa_user_sgpr_kernarg_segment_ptr 1
		.amdhsa_user_sgpr_dispatch_id 0
		.amdhsa_user_sgpr_kernarg_preload_length 0
		.amdhsa_user_sgpr_kernarg_preload_offset 0
		.amdhsa_user_sgpr_private_segment_size 0
		.amdhsa_wavefront_size32 1
		.amdhsa_uses_dynamic_stack 0
		.amdhsa_enable_private_segment 0
		.amdhsa_system_sgpr_workgroup_id_x 1
		.amdhsa_system_sgpr_workgroup_id_y 0
		.amdhsa_system_sgpr_workgroup_id_z 0
		.amdhsa_system_sgpr_workgroup_info 0
		.amdhsa_system_vgpr_workitem_id 0
		.amdhsa_next_free_vgpr 6
		.amdhsa_next_free_sgpr 16
		.amdhsa_named_barrier_count 0
		.amdhsa_reserve_vcc 1
		.amdhsa_float_round_mode_32 0
		.amdhsa_float_round_mode_16_64 0
		.amdhsa_float_denorm_mode_32 3
		.amdhsa_float_denorm_mode_16_64 3
		.amdhsa_fp16_overflow 0
		.amdhsa_memory_ordered 1
		.amdhsa_forward_progress 1
		.amdhsa_inst_pref_size 2
		.amdhsa_round_robin_scheduling 0
		.amdhsa_exception_fp_ieee_invalid_op 0
		.amdhsa_exception_fp_denorm_src 0
		.amdhsa_exception_fp_ieee_div_zero 0
		.amdhsa_exception_fp_ieee_overflow 0
		.amdhsa_exception_fp_ieee_underflow 0
		.amdhsa_exception_fp_ieee_inexact 0
		.amdhsa_exception_int_div_zero 0
	.end_amdhsa_kernel
	.section	.text._Z21simple_copy_on_deviceIN6thrust23THRUST_200600_302600_NS17counting_iteratorIiNS1_11use_defaultES3_S3_EENS1_6detail15normal_iteratorINS1_10device_ptrIiEEEEEvT_SA_T0_,"axG",@progbits,_Z21simple_copy_on_deviceIN6thrust23THRUST_200600_302600_NS17counting_iteratorIiNS1_11use_defaultES3_S3_EENS1_6detail15normal_iteratorINS1_10device_ptrIiEEEEEvT_SA_T0_,comdat
.Lfunc_end4:
	.size	_Z21simple_copy_on_deviceIN6thrust23THRUST_200600_302600_NS17counting_iteratorIiNS1_11use_defaultES3_S3_EENS1_6detail15normal_iteratorINS1_10device_ptrIiEEEEEvT_SA_T0_, .Lfunc_end4-_Z21simple_copy_on_deviceIN6thrust23THRUST_200600_302600_NS17counting_iteratorIiNS1_11use_defaultES3_S3_EENS1_6detail15normal_iteratorINS1_10device_ptrIiEEEEEvT_SA_T0_
                                        ; -- End function
	.set _Z21simple_copy_on_deviceIN6thrust23THRUST_200600_302600_NS17counting_iteratorIiNS1_11use_defaultES3_S3_EENS1_6detail15normal_iteratorINS1_10device_ptrIiEEEEEvT_SA_T0_.num_vgpr, 6
	.set _Z21simple_copy_on_deviceIN6thrust23THRUST_200600_302600_NS17counting_iteratorIiNS1_11use_defaultES3_S3_EENS1_6detail15normal_iteratorINS1_10device_ptrIiEEEEEvT_SA_T0_.num_agpr, 0
	.set _Z21simple_copy_on_deviceIN6thrust23THRUST_200600_302600_NS17counting_iteratorIiNS1_11use_defaultES3_S3_EENS1_6detail15normal_iteratorINS1_10device_ptrIiEEEEEvT_SA_T0_.numbered_sgpr, 16
	.set _Z21simple_copy_on_deviceIN6thrust23THRUST_200600_302600_NS17counting_iteratorIiNS1_11use_defaultES3_S3_EENS1_6detail15normal_iteratorINS1_10device_ptrIiEEEEEvT_SA_T0_.num_named_barrier, 0
	.set _Z21simple_copy_on_deviceIN6thrust23THRUST_200600_302600_NS17counting_iteratorIiNS1_11use_defaultES3_S3_EENS1_6detail15normal_iteratorINS1_10device_ptrIiEEEEEvT_SA_T0_.private_seg_size, 0
	.set _Z21simple_copy_on_deviceIN6thrust23THRUST_200600_302600_NS17counting_iteratorIiNS1_11use_defaultES3_S3_EENS1_6detail15normal_iteratorINS1_10device_ptrIiEEEEEvT_SA_T0_.uses_vcc, 1
	.set _Z21simple_copy_on_deviceIN6thrust23THRUST_200600_302600_NS17counting_iteratorIiNS1_11use_defaultES3_S3_EENS1_6detail15normal_iteratorINS1_10device_ptrIiEEEEEvT_SA_T0_.uses_flat_scratch, 0
	.set _Z21simple_copy_on_deviceIN6thrust23THRUST_200600_302600_NS17counting_iteratorIiNS1_11use_defaultES3_S3_EENS1_6detail15normal_iteratorINS1_10device_ptrIiEEEEEvT_SA_T0_.has_dyn_sized_stack, 0
	.set _Z21simple_copy_on_deviceIN6thrust23THRUST_200600_302600_NS17counting_iteratorIiNS1_11use_defaultES3_S3_EENS1_6detail15normal_iteratorINS1_10device_ptrIiEEEEEvT_SA_T0_.has_recursion, 0
	.set _Z21simple_copy_on_deviceIN6thrust23THRUST_200600_302600_NS17counting_iteratorIiNS1_11use_defaultES3_S3_EENS1_6detail15normal_iteratorINS1_10device_ptrIiEEEEEvT_SA_T0_.has_indirect_call, 0
	.section	.AMDGPU.csdata,"",@progbits
; Kernel info:
; codeLenInByte = 248
; TotalNumSgprs: 18
; NumVgprs: 6
; ScratchSize: 0
; MemoryBound: 0
; FloatMode: 240
; IeeeMode: 1
; LDSByteSize: 0 bytes/workgroup (compile time only)
; SGPRBlocks: 0
; VGPRBlocks: 0
; NumSGPRsForWavesPerEU: 18
; NumVGPRsForWavesPerEU: 6
; NamedBarCnt: 0
; Occupancy: 16
; WaveLimiterHint : 0
; COMPUTE_PGM_RSRC2:SCRATCH_EN: 0
; COMPUTE_PGM_RSRC2:USER_SGPR: 2
; COMPUTE_PGM_RSRC2:TRAP_HANDLER: 0
; COMPUTE_PGM_RSRC2:TGID_X_EN: 1
; COMPUTE_PGM_RSRC2:TGID_Y_EN: 0
; COMPUTE_PGM_RSRC2:TGID_Z_EN: 0
; COMPUTE_PGM_RSRC2:TIDIG_COMP_CNT: 0
	.section	.text._Z21simple_copy_on_deviceIN6thrust23THRUST_200600_302600_NS18transform_iteratorINS1_6negateIiEENS1_17counting_iteratorIiNS1_11use_defaultES6_S6_EES6_S6_EENS1_6detail15normal_iteratorINS1_10device_ptrIiEEEEEvT_SE_T0_,"axG",@progbits,_Z21simple_copy_on_deviceIN6thrust23THRUST_200600_302600_NS18transform_iteratorINS1_6negateIiEENS1_17counting_iteratorIiNS1_11use_defaultES6_S6_EES6_S6_EENS1_6detail15normal_iteratorINS1_10device_ptrIiEEEEEvT_SE_T0_,comdat
	.protected	_Z21simple_copy_on_deviceIN6thrust23THRUST_200600_302600_NS18transform_iteratorINS1_6negateIiEENS1_17counting_iteratorIiNS1_11use_defaultES6_S6_EES6_S6_EENS1_6detail15normal_iteratorINS1_10device_ptrIiEEEEEvT_SE_T0_ ; -- Begin function _Z21simple_copy_on_deviceIN6thrust23THRUST_200600_302600_NS18transform_iteratorINS1_6negateIiEENS1_17counting_iteratorIiNS1_11use_defaultES6_S6_EES6_S6_EENS1_6detail15normal_iteratorINS1_10device_ptrIiEEEEEvT_SE_T0_
	.globl	_Z21simple_copy_on_deviceIN6thrust23THRUST_200600_302600_NS18transform_iteratorINS1_6negateIiEENS1_17counting_iteratorIiNS1_11use_defaultES6_S6_EES6_S6_EENS1_6detail15normal_iteratorINS1_10device_ptrIiEEEEEvT_SE_T0_
	.p2align	8
	.type	_Z21simple_copy_on_deviceIN6thrust23THRUST_200600_302600_NS18transform_iteratorINS1_6negateIiEENS1_17counting_iteratorIiNS1_11use_defaultES6_S6_EES6_S6_EENS1_6detail15normal_iteratorINS1_10device_ptrIiEEEEEvT_SE_T0_,@function
_Z21simple_copy_on_deviceIN6thrust23THRUST_200600_302600_NS18transform_iteratorINS1_6negateIiEENS1_17counting_iteratorIiNS1_11use_defaultES6_S6_EES6_S6_EENS1_6detail15normal_iteratorINS1_10device_ptrIiEEEEEvT_SE_T0_: ; @_Z21simple_copy_on_deviceIN6thrust23THRUST_200600_302600_NS18transform_iteratorINS1_6negateIiEENS1_17counting_iteratorIiNS1_11use_defaultES6_S6_EES6_S6_EENS1_6detail15normal_iteratorINS1_10device_ptrIiEEEEEvT_SE_T0_
; %bb.0:
	s_load_b128 s[4:7], s[0:1], 0x0
	s_wait_kmcnt 0x0
	s_cmp_eq_u32 s4, s6
	s_cbranch_scc1 .LBB5_8
; %bb.1:
	s_load_b64 s[2:3], s[0:1], 0x10
	s_wait_xcnt 0x0
	s_not_b32 s0, s4
	s_mov_b32 s1, 0
	s_add_co_i32 s0, s6, s0
	s_delay_alu instid0(SALU_CYCLE_1)
	s_cmp_eq_u32 s0, 0
	s_cbranch_scc1 .LBB5_5
; %bb.2:
	s_add_nc_u64 s[0:1], s[0:1], 1
	v_mov_b32_e32 v0, 0
	s_add_co_i32 s5, s4, 1
	s_and_b64 s[8:9], s[0:1], 0x1fffffffe
	s_wait_kmcnt 0x0
	s_mov_b64 s[12:13], s[2:3]
	s_mov_b64 s[10:11], s[8:9]
	;; [unrolled: 1-line block ×3, first 2 shown]
.LBB5_3:                                ; =>This Inner Loop Header: Depth=1
	s_delay_alu instid0(SALU_CYCLE_1) | instskip(SKIP_1) | instid1(SALU_CYCLE_1)
	s_sub_co_i32 s5, 0, s15
	s_sub_co_i32 s7, 0, s14
	v_dual_mov_b32 v3, s5 :: v_dual_mov_b32 v2, s7
	s_add_nc_u64 s[10:11], s[10:11], -2
	s_add_co_i32 s15, s15, 2
	s_add_co_i32 s14, s14, 2
	s_cmp_lg_u64 s[10:11], 0
	global_store_b64 v0, v[2:3], s[12:13]
	s_wait_xcnt 0x0
	s_add_nc_u64 s[12:13], s[12:13], 8
	s_cbranch_scc1 .LBB5_3
; %bb.4:
	s_add_co_i32 s4, s4, s8
	s_lshl_b64 s[10:11], s[8:9], 2
	s_cmp_lg_u64 s[0:1], s[8:9]
	s_add_nc_u64 s[2:3], s[2:3], s[10:11]
	s_cselect_b32 s0, -1, 0
	s_delay_alu instid0(SALU_CYCLE_1)
	s_and_b32 vcc_lo, exec_lo, s0
	s_cbranch_vccnz .LBB5_6
	s_branch .LBB5_8
.LBB5_5:
	s_cbranch_execz .LBB5_8
.LBB5_6:
	v_mov_b32_e32 v0, 0
	s_sub_co_i32 s0, 0, s6
	s_sub_co_i32 s1, 0, s4
.LBB5_7:                                ; =>This Inner Loop Header: Depth=1
	s_delay_alu instid0(SALU_CYCLE_1)
	v_mov_b32_e32 v1, s1
	s_add_co_i32 s1, s1, -1
	s_wait_kmcnt 0x0
	s_add_nc_u64 s[4:5], s[2:3], 4
	s_cmp_lg_u32 s0, s1
	global_store_b32 v0, v1, s[2:3]
	s_wait_xcnt 0x0
	s_mov_b64 s[2:3], s[4:5]
	s_cbranch_scc1 .LBB5_7
.LBB5_8:
	s_endpgm
	.section	.rodata,"a",@progbits
	.p2align	6, 0x0
	.amdhsa_kernel _Z21simple_copy_on_deviceIN6thrust23THRUST_200600_302600_NS18transform_iteratorINS1_6negateIiEENS1_17counting_iteratorIiNS1_11use_defaultES6_S6_EES6_S6_EENS1_6detail15normal_iteratorINS1_10device_ptrIiEEEEEvT_SE_T0_
		.amdhsa_group_segment_fixed_size 0
		.amdhsa_private_segment_fixed_size 0
		.amdhsa_kernarg_size 24
		.amdhsa_user_sgpr_count 2
		.amdhsa_user_sgpr_dispatch_ptr 0
		.amdhsa_user_sgpr_queue_ptr 0
		.amdhsa_user_sgpr_kernarg_segment_ptr 1
		.amdhsa_user_sgpr_dispatch_id 0
		.amdhsa_user_sgpr_kernarg_preload_length 0
		.amdhsa_user_sgpr_kernarg_preload_offset 0
		.amdhsa_user_sgpr_private_segment_size 0
		.amdhsa_wavefront_size32 1
		.amdhsa_uses_dynamic_stack 0
		.amdhsa_enable_private_segment 0
		.amdhsa_system_sgpr_workgroup_id_x 1
		.amdhsa_system_sgpr_workgroup_id_y 0
		.amdhsa_system_sgpr_workgroup_id_z 0
		.amdhsa_system_sgpr_workgroup_info 0
		.amdhsa_system_vgpr_workitem_id 0
		.amdhsa_next_free_vgpr 4
		.amdhsa_next_free_sgpr 16
		.amdhsa_named_barrier_count 0
		.amdhsa_reserve_vcc 1
		.amdhsa_float_round_mode_32 0
		.amdhsa_float_round_mode_16_64 0
		.amdhsa_float_denorm_mode_32 3
		.amdhsa_float_denorm_mode_16_64 3
		.amdhsa_fp16_overflow 0
		.amdhsa_memory_ordered 1
		.amdhsa_forward_progress 1
		.amdhsa_inst_pref_size 3
		.amdhsa_round_robin_scheduling 0
		.amdhsa_exception_fp_ieee_invalid_op 0
		.amdhsa_exception_fp_denorm_src 0
		.amdhsa_exception_fp_ieee_div_zero 0
		.amdhsa_exception_fp_ieee_overflow 0
		.amdhsa_exception_fp_ieee_underflow 0
		.amdhsa_exception_fp_ieee_inexact 0
		.amdhsa_exception_int_div_zero 0
	.end_amdhsa_kernel
	.section	.text._Z21simple_copy_on_deviceIN6thrust23THRUST_200600_302600_NS18transform_iteratorINS1_6negateIiEENS1_17counting_iteratorIiNS1_11use_defaultES6_S6_EES6_S6_EENS1_6detail15normal_iteratorINS1_10device_ptrIiEEEEEvT_SE_T0_,"axG",@progbits,_Z21simple_copy_on_deviceIN6thrust23THRUST_200600_302600_NS18transform_iteratorINS1_6negateIiEENS1_17counting_iteratorIiNS1_11use_defaultES6_S6_EES6_S6_EENS1_6detail15normal_iteratorINS1_10device_ptrIiEEEEEvT_SE_T0_,comdat
.Lfunc_end5:
	.size	_Z21simple_copy_on_deviceIN6thrust23THRUST_200600_302600_NS18transform_iteratorINS1_6negateIiEENS1_17counting_iteratorIiNS1_11use_defaultES6_S6_EES6_S6_EENS1_6detail15normal_iteratorINS1_10device_ptrIiEEEEEvT_SE_T0_, .Lfunc_end5-_Z21simple_copy_on_deviceIN6thrust23THRUST_200600_302600_NS18transform_iteratorINS1_6negateIiEENS1_17counting_iteratorIiNS1_11use_defaultES6_S6_EES6_S6_EENS1_6detail15normal_iteratorINS1_10device_ptrIiEEEEEvT_SE_T0_
                                        ; -- End function
	.set _Z21simple_copy_on_deviceIN6thrust23THRUST_200600_302600_NS18transform_iteratorINS1_6negateIiEENS1_17counting_iteratorIiNS1_11use_defaultES6_S6_EES6_S6_EENS1_6detail15normal_iteratorINS1_10device_ptrIiEEEEEvT_SE_T0_.num_vgpr, 4
	.set _Z21simple_copy_on_deviceIN6thrust23THRUST_200600_302600_NS18transform_iteratorINS1_6negateIiEENS1_17counting_iteratorIiNS1_11use_defaultES6_S6_EES6_S6_EENS1_6detail15normal_iteratorINS1_10device_ptrIiEEEEEvT_SE_T0_.num_agpr, 0
	.set _Z21simple_copy_on_deviceIN6thrust23THRUST_200600_302600_NS18transform_iteratorINS1_6negateIiEENS1_17counting_iteratorIiNS1_11use_defaultES6_S6_EES6_S6_EENS1_6detail15normal_iteratorINS1_10device_ptrIiEEEEEvT_SE_T0_.numbered_sgpr, 16
	.set _Z21simple_copy_on_deviceIN6thrust23THRUST_200600_302600_NS18transform_iteratorINS1_6negateIiEENS1_17counting_iteratorIiNS1_11use_defaultES6_S6_EES6_S6_EENS1_6detail15normal_iteratorINS1_10device_ptrIiEEEEEvT_SE_T0_.num_named_barrier, 0
	.set _Z21simple_copy_on_deviceIN6thrust23THRUST_200600_302600_NS18transform_iteratorINS1_6negateIiEENS1_17counting_iteratorIiNS1_11use_defaultES6_S6_EES6_S6_EENS1_6detail15normal_iteratorINS1_10device_ptrIiEEEEEvT_SE_T0_.private_seg_size, 0
	.set _Z21simple_copy_on_deviceIN6thrust23THRUST_200600_302600_NS18transform_iteratorINS1_6negateIiEENS1_17counting_iteratorIiNS1_11use_defaultES6_S6_EES6_S6_EENS1_6detail15normal_iteratorINS1_10device_ptrIiEEEEEvT_SE_T0_.uses_vcc, 1
	.set _Z21simple_copy_on_deviceIN6thrust23THRUST_200600_302600_NS18transform_iteratorINS1_6negateIiEENS1_17counting_iteratorIiNS1_11use_defaultES6_S6_EES6_S6_EENS1_6detail15normal_iteratorINS1_10device_ptrIiEEEEEvT_SE_T0_.uses_flat_scratch, 0
	.set _Z21simple_copy_on_deviceIN6thrust23THRUST_200600_302600_NS18transform_iteratorINS1_6negateIiEENS1_17counting_iteratorIiNS1_11use_defaultES6_S6_EES6_S6_EENS1_6detail15normal_iteratorINS1_10device_ptrIiEEEEEvT_SE_T0_.has_dyn_sized_stack, 0
	.set _Z21simple_copy_on_deviceIN6thrust23THRUST_200600_302600_NS18transform_iteratorINS1_6negateIiEENS1_17counting_iteratorIiNS1_11use_defaultES6_S6_EES6_S6_EENS1_6detail15normal_iteratorINS1_10device_ptrIiEEEEEvT_SE_T0_.has_recursion, 0
	.set _Z21simple_copy_on_deviceIN6thrust23THRUST_200600_302600_NS18transform_iteratorINS1_6negateIiEENS1_17counting_iteratorIiNS1_11use_defaultES6_S6_EES6_S6_EENS1_6detail15normal_iteratorINS1_10device_ptrIiEEEEEvT_SE_T0_.has_indirect_call, 0
	.section	.AMDGPU.csdata,"",@progbits
; Kernel info:
; codeLenInByte = 260
; TotalNumSgprs: 18
; NumVgprs: 4
; ScratchSize: 0
; MemoryBound: 0
; FloatMode: 240
; IeeeMode: 1
; LDSByteSize: 0 bytes/workgroup (compile time only)
; SGPRBlocks: 0
; VGPRBlocks: 0
; NumSGPRsForWavesPerEU: 18
; NumVGPRsForWavesPerEU: 4
; NamedBarCnt: 0
; Occupancy: 16
; WaveLimiterHint : 0
; COMPUTE_PGM_RSRC2:SCRATCH_EN: 0
; COMPUTE_PGM_RSRC2:USER_SGPR: 2
; COMPUTE_PGM_RSRC2:TRAP_HANDLER: 0
; COMPUTE_PGM_RSRC2:TGID_X_EN: 1
; COMPUTE_PGM_RSRC2:TGID_Y_EN: 0
; COMPUTE_PGM_RSRC2:TGID_Z_EN: 0
; COMPUTE_PGM_RSRC2:TIDIG_COMP_CNT: 0
	.section	.AMDGPU.gpr_maximums,"",@progbits
	.set amdgpu.max_num_vgpr, 0
	.set amdgpu.max_num_agpr, 0
	.set amdgpu.max_num_sgpr, 0
	.section	.AMDGPU.csdata,"",@progbits
	.type	__hip_cuid_982f3a323fb3b4b9,@object ; @__hip_cuid_982f3a323fb3b4b9
	.section	.bss,"aw",@nobits
	.globl	__hip_cuid_982f3a323fb3b4b9
__hip_cuid_982f3a323fb3b4b9:
	.byte	0                               ; 0x0
	.size	__hip_cuid_982f3a323fb3b4b9, 1

	.ident	"AMD clang version 22.0.0git (https://github.com/RadeonOpenCompute/llvm-project roc-7.2.4 26084 f58b06dce1f9c15707c5f808fd002e18c2accf7e)"
	.section	".note.GNU-stack","",@progbits
	.addrsig
	.addrsig_sym __hip_cuid_982f3a323fb3b4b9
	.amdgpu_metadata
---
amdhsa.kernels:
  - .args:
      - .offset:         0
        .size:           16
        .value_kind:     by_value
      - .offset:         16
        .size:           8
        .value_kind:     by_value
      - .offset:         24
        .size:           8
        .value_kind:     by_value
    .group_segment_fixed_size: 0
    .kernarg_segment_align: 8
    .kernarg_segment_size: 32
    .language:       OpenCL C
    .language_version:
      - 2
      - 0
    .max_flat_workgroup_size: 256
    .name:           _ZN6thrust23THRUST_200600_302600_NS11hip_rocprim14__parallel_for6kernelILj256ENS1_20__uninitialized_fill7functorINS0_10device_ptrIiEEiEEmLj1EEEvT0_T1_SA_
    .private_segment_fixed_size: 0
    .sgpr_count:     14
    .sgpr_spill_count: 0
    .symbol:         _ZN6thrust23THRUST_200600_302600_NS11hip_rocprim14__parallel_for6kernelILj256ENS1_20__uninitialized_fill7functorINS0_10device_ptrIiEEiEEmLj1EEEvT0_T1_SA_.kd
    .uniform_work_group_size: 1
    .uses_dynamic_stack: false
    .vgpr_count:     2
    .vgpr_spill_count: 0
    .wavefront_size: 32
  - .args:
      - .address_space:  global
        .offset:         0
        .size:           8
        .value_kind:     global_buffer
      - .address_space:  global
        .offset:         8
        .size:           8
        .value_kind:     global_buffer
      - .address_space:  global
        .offset:         16
        .size:           8
        .value_kind:     global_buffer
    .group_segment_fixed_size: 0
    .kernarg_segment_align: 8
    .kernarg_segment_size: 24
    .language:       OpenCL C
    .language_version:
      - 2
      - 0
    .max_flat_workgroup_size: 256
    .name:           _Z21simple_copy_on_deviceIN6thrust23THRUST_200600_302600_NS6detail15normal_iteratorINS1_10device_ptrIiEEEES6_EvT_S7_T0_
    .private_segment_fixed_size: 0
    .sgpr_count:     10
    .sgpr_spill_count: 0
    .symbol:         _Z21simple_copy_on_deviceIN6thrust23THRUST_200600_302600_NS6detail15normal_iteratorINS1_10device_ptrIiEEEES6_EvT_S7_T0_.kd
    .uniform_work_group_size: 1
    .uses_dynamic_stack: false
    .vgpr_count:     2
    .vgpr_spill_count: 0
    .wavefront_size: 32
  - .args:
      - .address_space:  global
        .offset:         0
        .size:           8
        .value_kind:     global_buffer
      - .address_space:  global
        .offset:         8
        .size:           8
        .value_kind:     global_buffer
      - .address_space:  global
        .offset:         16
        .size:           8
        .value_kind:     global_buffer
    .group_segment_fixed_size: 0
    .kernarg_segment_align: 8
    .kernarg_segment_size: 24
    .language:       OpenCL C
    .language_version:
      - 2
      - 0
    .max_flat_workgroup_size: 256
    .name:           _Z21simple_copy_on_deviceIN6thrust23THRUST_200600_302600_NS10device_ptrIiEES3_EvT_S4_T0_
    .private_segment_fixed_size: 0
    .sgpr_count:     10
    .sgpr_spill_count: 0
    .symbol:         _Z21simple_copy_on_deviceIN6thrust23THRUST_200600_302600_NS10device_ptrIiEES3_EvT_S4_T0_.kd
    .uniform_work_group_size: 1
    .uses_dynamic_stack: false
    .vgpr_count:     2
    .vgpr_spill_count: 0
    .wavefront_size: 32
  - .args:
      - .offset:         0
        .size:           16
        .value_kind:     by_value
      - .offset:         16
        .size:           16
        .value_kind:     by_value
      - .address_space:  global
        .offset:         32
        .size:           8
        .value_kind:     global_buffer
    .group_segment_fixed_size: 0
    .kernarg_segment_align: 8
    .kernarg_segment_size: 40
    .language:       OpenCL C
    .language_version:
      - 2
      - 0
    .max_flat_workgroup_size: 256
    .name:           _Z21simple_copy_on_deviceIN6thrust23THRUST_200600_302600_NS18transform_iteratorINS1_8identityIiEENS1_6detail15normal_iteratorINS1_10device_ptrIiEEEENS1_11use_defaultESA_EES9_EvT_SC_T0_
    .private_segment_fixed_size: 0
    .sgpr_count:     8
    .sgpr_spill_count: 0
    .symbol:         _Z21simple_copy_on_deviceIN6thrust23THRUST_200600_302600_NS18transform_iteratorINS1_8identityIiEENS1_6detail15normal_iteratorINS1_10device_ptrIiEEEENS1_11use_defaultESA_EES9_EvT_SC_T0_.kd
    .uniform_work_group_size: 1
    .uses_dynamic_stack: false
    .vgpr_count:     2
    .vgpr_spill_count: 0
    .wavefront_size: 32
  - .args:
      - .offset:         0
        .size:           4
        .value_kind:     by_value
      - .offset:         4
        .size:           4
        .value_kind:     by_value
      - .address_space:  global
        .offset:         8
        .size:           8
        .value_kind:     global_buffer
    .group_segment_fixed_size: 0
    .kernarg_segment_align: 8
    .kernarg_segment_size: 16
    .language:       OpenCL C
    .language_version:
      - 2
      - 0
    .max_flat_workgroup_size: 256
    .name:           _Z21simple_copy_on_deviceIN6thrust23THRUST_200600_302600_NS17counting_iteratorIiNS1_11use_defaultES3_S3_EENS1_6detail15normal_iteratorINS1_10device_ptrIiEEEEEvT_SA_T0_
    .private_segment_fixed_size: 0
    .sgpr_count:     18
    .sgpr_spill_count: 0
    .symbol:         _Z21simple_copy_on_deviceIN6thrust23THRUST_200600_302600_NS17counting_iteratorIiNS1_11use_defaultES3_S3_EENS1_6detail15normal_iteratorINS1_10device_ptrIiEEEEEvT_SA_T0_.kd
    .uniform_work_group_size: 1
    .uses_dynamic_stack: false
    .vgpr_count:     6
    .vgpr_spill_count: 0
    .wavefront_size: 32
  - .args:
      - .offset:         0
        .size:           8
        .value_kind:     by_value
      - .offset:         8
        .size:           8
        .value_kind:     by_value
      - .address_space:  global
        .offset:         16
        .size:           8
        .value_kind:     global_buffer
    .group_segment_fixed_size: 0
    .kernarg_segment_align: 8
    .kernarg_segment_size: 24
    .language:       OpenCL C
    .language_version:
      - 2
      - 0
    .max_flat_workgroup_size: 256
    .name:           _Z21simple_copy_on_deviceIN6thrust23THRUST_200600_302600_NS18transform_iteratorINS1_6negateIiEENS1_17counting_iteratorIiNS1_11use_defaultES6_S6_EES6_S6_EENS1_6detail15normal_iteratorINS1_10device_ptrIiEEEEEvT_SE_T0_
    .private_segment_fixed_size: 0
    .sgpr_count:     18
    .sgpr_spill_count: 0
    .symbol:         _Z21simple_copy_on_deviceIN6thrust23THRUST_200600_302600_NS18transform_iteratorINS1_6negateIiEENS1_17counting_iteratorIiNS1_11use_defaultES6_S6_EES6_S6_EENS1_6detail15normal_iteratorINS1_10device_ptrIiEEEEEvT_SE_T0_.kd
    .uniform_work_group_size: 1
    .uses_dynamic_stack: false
    .vgpr_count:     4
    .vgpr_spill_count: 0
    .wavefront_size: 32
amdhsa.target:   amdgcn-amd-amdhsa--gfx1250
amdhsa.version:
  - 1
  - 2
...

	.end_amdgpu_metadata
